;; amdgpu-corpus repo=ROCm/rocFFT kind=compiled arch=gfx1201 opt=O3
	.text
	.amdgcn_target "amdgcn-amd-amdhsa--gfx1201"
	.amdhsa_code_object_version 6
	.protected	bluestein_single_fwd_len80_dim1_dp_op_CI_CI ; -- Begin function bluestein_single_fwd_len80_dim1_dp_op_CI_CI
	.globl	bluestein_single_fwd_len80_dim1_dp_op_CI_CI
	.p2align	8
	.type	bluestein_single_fwd_len80_dim1_dp_op_CI_CI,@function
bluestein_single_fwd_len80_dim1_dp_op_CI_CI: ; @bluestein_single_fwd_len80_dim1_dp_op_CI_CI
; %bb.0:
	s_load_b128 s[12:15], s[0:1], 0x28
	v_mul_u32_u24_e32 v1, 0x199a, v0
	s_mov_b32 s2, exec_lo
	s_delay_alu instid0(VALU_DEP_1) | instskip(NEXT) | instid1(VALU_DEP_1)
	v_lshrrev_b32_e32 v1, 16, v1
	v_mad_co_u64_u32 v[104:105], null, ttmp9, 6, v[1:2]
	v_mov_b32_e32 v105, 0
                                        ; kill: def $vgpr2 killed $sgpr0 killed $exec
	s_wait_kmcnt 0x0
	s_delay_alu instid0(VALU_DEP_1)
	v_cmpx_gt_u64_e64 s[12:13], v[104:105]
	s_cbranch_execz .LBB0_15
; %bb.1:
	s_clause 0x1
	s_load_b128 s[4:7], s[0:1], 0x18
	s_load_b64 s[12:13], s[0:1], 0x0
	v_mul_lo_u16 v1, v1, 10
	v_mul_hi_u32 v64, 0xaaaaaaab, v104
	s_delay_alu instid0(VALU_DEP_2) | instskip(SKIP_4) | instid1(VALU_DEP_1)
	v_sub_nc_u16 v62, v0, v1
	s_wait_kmcnt 0x0
	s_load_b128 s[8:11], s[4:5], 0x0
	s_wait_kmcnt 0x0
	v_mad_co_u64_u32 v[8:9], null, s10, v104, 0
	v_dual_mov_b32 v0, v9 :: v_dual_and_b32 v107, 0xffff, v62
	s_delay_alu instid0(VALU_DEP_1)
	v_or_b32_e32 v108, 16, v107
	v_or_b32_e32 v111, 48, v107
	;; [unrolled: 1-line block ×3, first 2 shown]
	v_mad_co_u64_u32 v[10:11], null, s8, v107, 0
	v_or_b32_e32 v110, 32, v107
	v_mad_co_u64_u32 v[12:13], null, s8, v108, 0
	v_mad_co_u64_u32 v[16:17], null, s8, v111, 0
	v_mad_co_u64_u32 v[18:19], null, s8, v112, 0
	s_delay_alu instid0(VALU_DEP_4) | instskip(SKIP_2) | instid1(VALU_DEP_4)
	v_mad_co_u64_u32 v[14:15], null, s8, v110, 0
	v_mov_b32_e32 v1, v11
	v_dual_mov_b32 v2, v13 :: v_dual_lshlrev_b32 v63, 4, v107
	v_dual_mov_b32 v4, v17 :: v_dual_mov_b32 v5, v19
	s_delay_alu instid0(VALU_DEP_3) | instskip(SKIP_1) | instid1(VALU_DEP_4)
	v_mad_co_u64_u32 v[19:20], null, s11, v104, v[0:1]
	v_mov_b32_e32 v3, v15
	v_mad_co_u64_u32 v[20:21], null, s9, v107, v[1:2]
	s_load_b64 s[10:11], s[0:1], 0x38
	v_add_co_u32 v72, s2, v107, 10
	s_delay_alu instid0(VALU_DEP_3) | instskip(SKIP_4) | instid1(VALU_DEP_4)
	v_mad_co_u64_u32 v[21:22], null, s9, v108, v[2:3]
	v_mov_b32_e32 v9, v19
	v_mad_co_u64_u32 v[22:23], null, s9, v110, v[3:4]
	v_mov_b32_e32 v11, v20
	v_mad_co_u64_u32 v[23:24], null, s9, v111, v[4:5]
	v_lshlrev_b64_e32 v[8:9], 4, v[8:9]
	v_mov_b32_e32 v13, v21
	v_mad_co_u64_u32 v[24:25], null, s9, v112, v[5:6]
	v_lshlrev_b64_e32 v[10:11], 4, v[10:11]
	v_mov_b32_e32 v15, v22
	v_add_co_u32 v20, vcc_lo, s14, v8
	v_lshlrev_b64_e32 v[12:13], 4, v[12:13]
	v_add_co_ci_u32_e32 v21, vcc_lo, s15, v9, vcc_lo
	v_mov_b32_e32 v17, v23
	v_lshlrev_b64_e32 v[14:15], 4, v[14:15]
	v_add_co_u32 v10, vcc_lo, v20, v10
	v_mov_b32_e32 v19, v24
	s_wait_alu 0xfffd
	v_add_co_ci_u32_e32 v11, vcc_lo, v21, v11, vcc_lo
	v_lshlrev_b64_e32 v[16:17], 4, v[16:17]
	v_add_co_u32 v12, vcc_lo, v20, v12
	s_wait_alu 0xfffd
	v_add_co_ci_u32_e32 v13, vcc_lo, v21, v13, vcc_lo
	v_lshlrev_b64_e32 v[8:9], 4, v[18:19]
	v_add_co_u32 v14, vcc_lo, v20, v14
	s_wait_alu 0xfffd
	v_add_co_ci_u32_e32 v15, vcc_lo, v21, v15, vcc_lo
	v_add_co_u32 v16, vcc_lo, v20, v16
	s_clause 0x1
	global_load_b128 v[4:7], v63, s[12:13]
	global_load_b128 v[0:3], v63, s[12:13] offset:256
	s_wait_alu 0xfffd
	v_add_co_ci_u32_e32 v17, vcc_lo, v21, v17, vcc_lo
	global_load_b128 v[22:25], v[10:11], off
	v_add_co_u32 v38, vcc_lo, v20, v8
	s_wait_alu 0xfffd
	v_add_co_ci_u32_e32 v39, vcc_lo, v21, v9, vcc_lo
	s_clause 0x1
	global_load_b128 v[26:29], v[12:13], off
	global_load_b128 v[30:33], v[14:15], off
	s_clause 0x1
	global_load_b128 v[12:15], v63, s[12:13] offset:512
	global_load_b128 v[8:11], v63, s[12:13] offset:768
	global_load_b128 v[34:37], v[16:17], off
	global_load_b128 v[16:19], v63, s[12:13] offset:1024
	global_load_b128 v[38:41], v[38:39], off
	s_load_b128 s[4:7], s[6:7], 0x0
	v_cmp_gt_u16_e32 vcc_lo, 6, v62
	s_wait_loadcnt 0x6
	v_mul_f64_e32 v[46:47], v[28:29], v[2:3]
	v_mul_f64_e32 v[42:43], v[24:25], v[6:7]
	;; [unrolled: 1-line block ×4, first 2 shown]
	s_wait_loadcnt 0x4
	v_mul_f64_e32 v[50:51], v[32:33], v[14:15]
	v_mul_f64_e32 v[52:53], v[30:31], v[14:15]
	s_wait_loadcnt 0x2
	v_mul_f64_e32 v[54:55], v[36:37], v[10:11]
	v_mul_f64_e32 v[56:57], v[34:35], v[10:11]
	;; [unrolled: 3-line block ×3, first 2 shown]
	v_fma_f64 v[26:27], v[26:27], v[0:1], v[46:47]
	v_fma_f64 v[22:23], v[22:23], v[4:5], v[42:43]
	v_fma_f64 v[24:25], v[24:25], v[4:5], -v[44:45]
	v_fma_f64 v[28:29], v[28:29], v[0:1], -v[48:49]
	v_fma_f64 v[30:31], v[30:31], v[12:13], v[50:51]
	v_fma_f64 v[32:33], v[32:33], v[12:13], -v[52:53]
	v_fma_f64 v[34:35], v[34:35], v[8:9], v[54:55]
	;; [unrolled: 2-line block ×3, first 2 shown]
	v_fma_f64 v[40:41], v[40:41], v[16:17], -v[60:61]
	v_lshrrev_b32_e32 v42, 2, v64
	v_add_co_ci_u32_e64 v43, null, 0, 0, s2
	v_add_co_u32 v105, s2, s12, v63
	s_delay_alu instid0(VALU_DEP_3) | instskip(SKIP_2) | instid1(VALU_DEP_2)
	v_mul_lo_u32 v42, v42, 6
	s_wait_alu 0xf1ff
	v_add_co_ci_u32_e64 v106, null, s13, 0, s2
	v_sub_nc_u32_e32 v42, v104, v42
	s_delay_alu instid0(VALU_DEP_1) | instskip(NEXT) | instid1(VALU_DEP_1)
	v_mul_u32_u24_e32 v114, 0x50, v42
	v_or_b32_e32 v42, v114, v107
	v_lshl_add_u32 v109, v114, 4, v63
	s_delay_alu instid0(VALU_DEP_2)
	v_lshlrev_b32_e32 v113, 4, v42
	ds_store_b128 v113, v[22:25]
	ds_store_b128 v109, v[26:29] offset:256
	ds_store_b128 v109, v[30:33] offset:512
	;; [unrolled: 1-line block ×4, first 2 shown]
	s_and_saveexec_b32 s3, vcc_lo
	s_cbranch_execz .LBB0_3
; %bb.2:
	v_mad_co_u64_u32 v[22:23], null, s8, v72, 0
	s_delay_alu instid0(VALU_DEP_1) | instskip(SKIP_1) | instid1(VALU_DEP_1)
	v_mad_co_u64_u32 v[23:24], null, s9, v72, v[23:24]
	s_lshl_b64 s[8:9], s[8:9], 8
	v_lshlrev_b64_e32 v[22:23], 4, v[22:23]
	s_delay_alu instid0(VALU_DEP_1) | instskip(SKIP_1) | instid1(VALU_DEP_2)
	v_add_co_u32 v28, s2, v20, v22
	s_wait_alu 0xf1ff
	v_add_co_ci_u32_e64 v29, s2, v21, v23, s2
	s_clause 0x1
	global_load_b128 v[20:23], v[105:106], off offset:160
	global_load_b128 v[24:27], v[105:106], off offset:416
	s_wait_alu 0xfffe
	v_add_co_u32 v32, s2, v28, s8
	s_wait_alu 0xf1ff
	v_add_co_ci_u32_e64 v33, s2, s9, v29, s2
	s_delay_alu instid0(VALU_DEP_2) | instskip(SKIP_1) | instid1(VALU_DEP_2)
	v_add_co_u32 v36, s2, v32, s8
	s_wait_alu 0xf1ff
	v_add_co_ci_u32_e64 v37, s2, s9, v33, s2
	s_clause 0x1
	global_load_b128 v[28:31], v[28:29], off
	global_load_b128 v[32:35], v[32:33], off
	v_add_co_u32 v48, s2, v36, s8
	s_wait_alu 0xf1ff
	v_add_co_ci_u32_e64 v49, s2, s9, v37, s2
	global_load_b128 v[36:39], v[36:37], off
	v_add_co_u32 v56, s2, v48, s8
	s_wait_alu 0xf1ff
	v_add_co_ci_u32_e64 v57, s2, s9, v49, s2
	s_clause 0x1
	global_load_b128 v[40:43], v[105:106], off offset:672
	global_load_b128 v[44:47], v[105:106], off offset:928
	global_load_b128 v[48:51], v[48:49], off
	global_load_b128 v[52:55], v[105:106], off offset:1184
	global_load_b128 v[56:59], v[56:57], off
	s_wait_loadcnt 0x7
	v_mul_f64_e32 v[60:61], v[30:31], v[22:23]
	v_mul_f64_e32 v[22:23], v[28:29], v[22:23]
	s_wait_loadcnt 0x6
	v_mul_f64_e32 v[62:63], v[34:35], v[26:27]
	v_mul_f64_e32 v[64:65], v[32:33], v[26:27]
	;; [unrolled: 3-line block ×5, first 2 shown]
	v_fma_f64 v[26:27], v[28:29], v[20:21], v[60:61]
	v_fma_f64 v[28:29], v[30:31], v[20:21], -v[22:23]
	v_fma_f64 v[20:21], v[32:33], v[24:25], v[62:63]
	v_fma_f64 v[22:23], v[34:35], v[24:25], -v[64:65]
	;; [unrolled: 2-line block ×5, first 2 shown]
	ds_store_b128 v109, v[26:29] offset:160
	ds_store_b128 v109, v[20:23] offset:416
	;; [unrolled: 1-line block ×5, first 2 shown]
.LBB0_3:
	s_wait_alu 0xfffe
	s_or_b32 exec_lo, exec_lo, s3
	global_wb scope:SCOPE_SE
	s_wait_dscnt 0x0
	s_wait_kmcnt 0x0
	s_barrier_signal -1
	s_barrier_wait -1
	global_inv scope:SCOPE_SE
	ds_load_b128 v[56:59], v113
	ds_load_b128 v[52:55], v109 offset:256
	ds_load_b128 v[48:51], v109 offset:512
	;; [unrolled: 1-line block ×4, first 2 shown]
	s_load_b64 s[2:3], s[0:1], 0x8
                                        ; implicit-def: $vgpr28_vgpr29
                                        ; implicit-def: $vgpr32_vgpr33
                                        ; implicit-def: $vgpr36_vgpr37
                                        ; implicit-def: $vgpr44_vgpr45
                                        ; implicit-def: $vgpr40_vgpr41
	s_and_saveexec_b32 s0, vcc_lo
	s_cbranch_execz .LBB0_5
; %bb.4:
	ds_load_b128 v[28:31], v109 offset:160
	ds_load_b128 v[40:43], v109 offset:416
	;; [unrolled: 1-line block ×5, first 2 shown]
.LBB0_5:
	s_wait_alu 0xfffe
	s_or_b32 exec_lo, exec_lo, s0
	s_wait_dscnt 0x1
	v_add_f64_e32 v[60:61], v[48:49], v[24:25]
	s_wait_dscnt 0x0
	v_add_f64_e32 v[62:63], v[52:53], v[20:21]
	v_add_f64_e32 v[66:67], v[50:51], v[26:27]
	;; [unrolled: 1-line block ×9, first 2 shown]
	v_add_f64_e64 v[64:65], v[34:35], -v[38:39]
	v_add_f64_e64 v[81:82], v[54:55], -v[22:23]
	;; [unrolled: 1-line block ×5, first 2 shown]
	s_mov_b32 s0, 0x134454ff
	s_mov_b32 s1, 0x3fee6f0e
	;; [unrolled: 1-line block ×3, first 2 shown]
	s_wait_alu 0xfffe
	s_mov_b32 s8, s0
	v_add_f64_e64 v[99:100], v[54:55], -v[50:51]
	v_add_f64_e64 v[101:102], v[22:23], -v[26:27]
	;; [unrolled: 1-line block ×12, first 2 shown]
	s_mov_b32 s15, 0xbfe2cf23
	global_wb scope:SCOPE_SE
	s_wait_kmcnt 0x0
	s_barrier_signal -1
	s_barrier_wait -1
	global_inv scope:SCOPE_SE
	v_fma_f64 v[91:92], v[60:61], -0.5, v[56:57]
	v_add_f64_e64 v[60:61], v[42:43], -v[46:47]
	v_fma_f64 v[93:94], v[62:63], -0.5, v[56:57]
	v_fma_f64 v[95:96], v[66:67], -0.5, v[58:59]
	v_add_f64_e64 v[62:63], v[40:41], -v[44:45]
	v_fma_f64 v[97:98], v[68:69], -0.5, v[58:59]
	v_add_f64_e64 v[68:69], v[32:33], -v[36:37]
	v_fma_f64 v[56:57], v[70:71], -0.5, v[28:29]
	v_fma_f64 v[58:59], v[73:74], -0.5, v[28:29]
	;; [unrolled: 1-line block ×4, first 2 shown]
	v_add_f64_e64 v[73:74], v[52:53], -v[48:49]
	v_add_f64_e64 v[52:53], v[48:49], -v[52:53]
	;; [unrolled: 1-line block ×3, first 2 shown]
	v_add_f64_e32 v[79:80], v[79:80], v[48:49]
	v_add_f64_e32 v[85:86], v[85:86], v[50:51]
	v_add_f64_e64 v[75:76], v[20:21], -v[24:25]
	v_add_f64_e32 v[99:100], v[99:100], v[101:102]
	v_add_f64_e32 v[101:102], v[54:55], v[115:116]
	;; [unrolled: 1-line block ×5, first 2 shown]
	v_fma_f64 v[133:134], v[81:82], s[0:1], v[91:92]
	s_wait_alu 0xfffe
	v_fma_f64 v[91:92], v[81:82], s[8:9], v[91:92]
	v_fma_f64 v[135:136], v[83:84], s[8:9], v[93:94]
	;; [unrolled: 1-line block ×11, first 2 shown]
	s_mov_b32 s8, 0x4755a5e
	s_mov_b32 s9, 0x3fe2cf23
	s_wait_alu 0xfffe
	s_mov_b32 s14, s8
	v_add_f64_e32 v[151:152], v[52:53], v[77:78]
	v_add_f64_e32 v[52:53], v[127:128], v[125:126]
	;; [unrolled: 1-line block ×5, first 2 shown]
	v_fma_f64 v[77:78], v[83:84], s[8:9], v[133:134]
	s_wait_alu 0xfffe
	v_fma_f64 v[79:80], v[83:84], s[14:15], v[91:92]
	v_fma_f64 v[83:84], v[81:82], s[8:9], v[135:136]
	;; [unrolled: 1-line block ×11, first 2 shown]
	s_mov_b32 s14, 0x372fe950
	s_mov_b32 s15, 0x3fd3c6ef
	v_add_f64_e32 v[73:74], v[24:25], v[20:21]
	v_add_f64_e32 v[75:76], v[26:27], v[22:23]
	s_wait_alu 0xfffe
	v_fma_f64 v[77:78], v[149:150], s[14:15], v[77:78]
	v_fma_f64 v[81:82], v[149:150], s[14:15], v[79:80]
	;; [unrolled: 1-line block ×12, first 2 shown]
	v_mul_lo_u16 v93, v107, 5
	v_mul_u32_u24_e32 v115, 5, v72
	s_delay_alu instid0(VALU_DEP_2) | instskip(NEXT) | instid1(VALU_DEP_1)
	v_and_b32_e32 v93, 0xffff, v93
	v_add_lshl_u32 v116, v114, v93, 4
	ds_store_b128 v116, v[73:76]
	ds_store_b128 v116, v[77:80] offset:16
	ds_store_b128 v116, v[85:88] offset:32
	;; [unrolled: 1-line block ×4, first 2 shown]
	s_and_saveexec_b32 s16, vcc_lo
	s_cbranch_execz .LBB0_7
; %bb.6:
	v_add_f64_e32 v[30:31], v[30:31], v[42:43]
	v_add_f64_e32 v[28:29], v[28:29], v[40:41]
	v_mul_f64_e32 v[75:76], s[0:1], v[62:63]
	v_mul_f64_e32 v[40:41], s[0:1], v[60:61]
	;; [unrolled: 1-line block ×8, first 2 shown]
	v_add_f64_e32 v[30:31], v[34:35], v[30:31]
	v_add_f64_e32 v[28:29], v[32:33], v[28:29]
	v_add_f64_e64 v[66:67], v[66:67], -v[75:76]
	v_add_f64_e32 v[32:33], v[56:57], v[40:41]
	v_add_f64_e32 v[70:71], v[73:74], v[70:71]
	v_add_f64_e64 v[34:35], v[58:59], -v[42:43]
	v_mul_f64_e32 v[40:41], s[14:15], v[48:49]
	v_mul_f64_e32 v[42:43], s[14:15], v[50:51]
	;; [unrolled: 1-line block ×4, first 2 shown]
	v_add_f64_e32 v[38:39], v[38:39], v[30:31]
	v_add_f64_e32 v[28:29], v[36:37], v[28:29]
	v_add_f64_e64 v[54:55], v[66:67], -v[68:69]
	v_add_f64_e32 v[32:33], v[64:65], v[32:33]
	v_add_f64_e64 v[52:53], v[70:71], -v[62:63]
	v_add_f64_e32 v[56:57], v[60:61], v[34:35]
	v_add_f64_e32 v[38:39], v[46:47], v[38:39]
	v_add_f64_e32 v[36:37], v[44:45], v[28:29]
	v_add_f64_e32 v[34:35], v[48:49], v[54:55]
	v_add_f64_e32 v[32:33], v[40:41], v[32:33]
	v_add_f64_e32 v[30:31], v[50:51], v[52:53]
	v_add_f64_e32 v[28:29], v[42:43], v[56:57]
	v_add_lshl_u32 v40, v114, v115, 4
	ds_store_b128 v40, v[36:39]
	ds_store_b128 v40, v[32:35] offset:16
	ds_store_b128 v40, v[28:31] offset:32
	;; [unrolled: 1-line block ×4, first 2 shown]
.LBB0_7:
	s_or_b32 exec_lo, exec_lo, s16
	v_add_nc_u16 v28, v107, 20
	v_and_b32_e32 v29, 0xff, v72
	v_add_nc_u16 v30, v107, 30
	v_add_co_u32 v33, s0, v107, -5
	s_delay_alu instid0(VALU_DEP_4) | instskip(NEXT) | instid1(VALU_DEP_4)
	v_and_b32_e32 v31, 0xff, v28
	v_mul_lo_u16 v29, 0xcd, v29
	s_delay_alu instid0(VALU_DEP_4)
	v_and_b32_e32 v32, 0xff, v30
	s_wait_alu 0xf1ff
	v_add_co_ci_u32_e64 v34, null, 0, -1, s0
	v_mul_lo_u16 v31, 0xcd, v31
	v_lshrrev_b16 v78, 10, v29
	v_mul_lo_u16 v29, 0xcd, v32
	v_cmp_gt_u16_e64 s0, 5, v107
	global_wb scope:SCOPE_SE
	s_wait_dscnt 0x0
	v_lshrrev_b16 v79, 10, v31
	v_mul_lo_u16 v31, v78, 5
	v_lshrrev_b16 v80, 10, v29
	s_wait_alu 0xf1ff
	v_cndmask_b32_e64 v77, v34, 0, s0
	v_cndmask_b32_e64 v76, v33, v107, s0
	v_mul_lo_u16 v29, v79, 5
	v_sub_nc_u16 v81, v72, v31
	v_mul_lo_u16 v31, v80, 5
	s_barrier_signal -1
	s_barrier_wait -1
	v_sub_nc_u16 v82, v28, v29
	v_lshlrev_b64_e32 v[28:29], 4, v[76:77]
	v_sub_nc_u16 v77, v30, v31
	v_and_b32_e32 v32, 0xff, v81
	global_inv scope:SCOPE_SE
	v_and_b32_e32 v30, 0xff, v82
	v_mad_u16 v78, v78, 10, v81
	v_add_co_u32 v28, s0, s2, v28
	s_wait_alu 0xf1ff
	v_add_co_ci_u32_e64 v29, s0, s3, v29, s0
	v_and_b32_e32 v31, 0xff, v77
	v_lshlrev_b32_e32 v32, 4, v32
	v_lshlrev_b32_e32 v30, 4, v30
	global_load_b128 v[36:39], v[28:29], off
	v_cmp_lt_u16_e64 s0, 4, v107
	v_lshlrev_b32_e32 v28, 4, v31
	s_clause 0x2
	global_load_b128 v[40:43], v32, s[2:3]
	global_load_b128 v[32:35], v30, s[2:3]
	;; [unrolled: 1-line block ×3, first 2 shown]
	ds_load_b128 v[44:47], v109 offset:640
	ds_load_b128 v[48:51], v109 offset:800
	;; [unrolled: 1-line block ×4, first 2 shown]
	s_wait_alu 0xf1ff
	v_cndmask_b32_e64 v83, 0, 10, s0
	v_and_b32_e32 v78, 0xff, v78
	v_mad_u16 v79, v79, 10, v82
	v_mad_u16 v80, v80, 10, v77
	s_mov_b32 s0, 0x667f3bcd
	v_add_nc_u32_e32 v81, v76, v83
	v_mad_co_u64_u32 v[76:77], null, 0x70, v107, s[2:3]
	v_add_lshl_u32 v119, v114, v78, 4
	v_and_b32_e32 v78, 0xff, v79
	s_delay_alu instid0(VALU_DEP_4)
	v_add_lshl_u32 v120, v114, v81, 4
	v_and_b32_e32 v79, 0xff, v80
	s_mov_b32 s1, 0xbfe6a09e
	s_mov_b32 s3, 0x3fe6a09e
	v_add_lshl_u32 v118, v114, v78, 4
	s_wait_alu 0xfffe
	s_mov_b32 s2, s0
	v_add_lshl_u32 v117, v114, v79, 4
	s_wait_loadcnt_dscnt 0x303
	v_mul_f64_e32 v[60:61], v[46:47], v[38:39]
	v_mul_f64_e32 v[62:63], v[44:45], v[38:39]
	s_wait_loadcnt_dscnt 0x202
	v_mul_f64_e32 v[64:65], v[50:51], v[42:43]
	v_mul_f64_e32 v[66:67], v[48:49], v[42:43]
	;; [unrolled: 3-line block ×4, first 2 shown]
	v_fma_f64 v[60:61], v[44:45], v[36:37], -v[60:61]
	v_fma_f64 v[62:63], v[46:47], v[36:37], v[62:63]
	v_fma_f64 v[64:65], v[48:49], v[40:41], -v[64:65]
	v_fma_f64 v[66:67], v[50:51], v[40:41], v[66:67]
	;; [unrolled: 2-line block ×4, first 2 shown]
	ds_load_b128 v[44:47], v113
	ds_load_b128 v[48:51], v109 offset:160
	ds_load_b128 v[52:55], v109 offset:320
	;; [unrolled: 1-line block ×3, first 2 shown]
	global_wb scope:SCOPE_SE
	s_wait_dscnt 0x0
	s_barrier_signal -1
	s_barrier_wait -1
	global_inv scope:SCOPE_SE
	v_add_f64_e64 v[60:61], v[44:45], -v[60:61]
	v_add_f64_e64 v[62:63], v[46:47], -v[62:63]
	;; [unrolled: 1-line block ×8, first 2 shown]
	v_fma_f64 v[44:45], v[44:45], 2.0, -v[60:61]
	v_fma_f64 v[46:47], v[46:47], 2.0, -v[62:63]
	v_fma_f64 v[48:49], v[48:49], 2.0, -v[64:65]
	v_fma_f64 v[50:51], v[50:51], 2.0, -v[66:67]
	v_fma_f64 v[52:53], v[52:53], 2.0, -v[68:69]
	v_fma_f64 v[54:55], v[54:55], 2.0, -v[70:71]
	v_fma_f64 v[56:57], v[56:57], 2.0, -v[72:73]
	v_fma_f64 v[58:59], v[58:59], 2.0, -v[74:75]
	ds_store_b128 v120, v[44:47]
	ds_store_b128 v120, v[60:63] offset:80
	ds_store_b128 v119, v[48:51]
	ds_store_b128 v119, v[64:67] offset:80
	;; [unrolled: 2-line block ×4, first 2 shown]
	global_wb scope:SCOPE_SE
	s_wait_dscnt 0x0
	s_barrier_signal -1
	s_barrier_wait -1
	global_inv scope:SCOPE_SE
	s_clause 0x6
	global_load_b128 v[52:55], v[76:77], off offset:80
	global_load_b128 v[48:51], v[76:77], off offset:96
	;; [unrolled: 1-line block ×7, first 2 shown]
	ds_load_b128 v[72:75], v109 offset:160
	ds_load_b128 v[76:79], v109 offset:320
	;; [unrolled: 1-line block ×7, first 2 shown]
	s_wait_loadcnt_dscnt 0x606
	v_mul_f64_e32 v[100:101], v[74:75], v[54:55]
	v_mul_f64_e32 v[102:103], v[72:73], v[54:55]
	s_wait_loadcnt_dscnt 0x505
	v_mul_f64_e32 v[121:122], v[78:79], v[50:51]
	v_mul_f64_e32 v[123:124], v[76:77], v[50:51]
	;; [unrolled: 3-line block ×7, first 2 shown]
	v_fma_f64 v[100:101], v[72:73], v[52:53], -v[100:101]
	v_fma_f64 v[102:103], v[74:75], v[52:53], v[102:103]
	v_fma_f64 v[76:77], v[76:77], v[48:49], -v[121:122]
	v_fma_f64 v[78:79], v[78:79], v[48:49], v[123:124]
	;; [unrolled: 2-line block ×7, first 2 shown]
	ds_load_b128 v[72:75], v113
	s_wait_dscnt 0x0
	v_add_f64_e64 v[80:81], v[72:73], -v[80:81]
	v_add_f64_e64 v[82:83], v[74:75], -v[82:83]
	;; [unrolled: 1-line block ×8, first 2 shown]
	v_fma_f64 v[72:73], v[72:73], 2.0, -v[80:81]
	v_fma_f64 v[74:75], v[74:75], 2.0, -v[82:83]
	;; [unrolled: 1-line block ×6, first 2 shown]
	v_add_f64_e64 v[121:122], v[80:81], -v[86:87]
	v_add_f64_e32 v[123:124], v[82:83], v[84:85]
	v_fma_f64 v[84:85], v[92:93], 2.0, -v[96:97]
	v_fma_f64 v[86:87], v[94:95], 2.0, -v[98:99]
	v_add_f64_e64 v[92:93], v[88:89], -v[98:99]
	v_add_f64_e32 v[94:95], v[90:91], v[96:97]
	v_add_f64_e64 v[96:97], v[72:73], -v[76:77]
	v_add_f64_e64 v[98:99], v[74:75], -v[78:79]
	v_fma_f64 v[125:126], v[80:81], 2.0, -v[121:122]
	v_fma_f64 v[127:128], v[82:83], 2.0, -v[123:124]
	v_add_f64_e64 v[76:77], v[100:101], -v[84:85]
	v_add_f64_e64 v[78:79], v[102:103], -v[86:87]
	v_fma_f64 v[80:81], v[88:89], 2.0, -v[92:93]
	v_fma_f64 v[82:83], v[90:91], 2.0, -v[94:95]
	v_fma_f64 v[129:130], v[72:73], 2.0, -v[96:97]
	v_fma_f64 v[131:132], v[74:75], 2.0, -v[98:99]
	v_fma_f64 v[84:85], v[100:101], 2.0, -v[76:77]
	v_fma_f64 v[86:87], v[102:103], 2.0, -v[78:79]
	v_fma_f64 v[88:89], v[80:81], s[0:1], v[125:126]
	v_fma_f64 v[90:91], v[82:83], s[0:1], v[127:128]
	s_wait_alu 0xfffe
	v_fma_f64 v[100:101], v[92:93], s[2:3], v[121:122]
	v_fma_f64 v[102:103], v[94:95], s[2:3], v[123:124]
	v_add_f64_e64 v[72:73], v[96:97], -v[78:79]
	v_add_f64_e32 v[74:75], v[98:99], v[76:77]
	v_add_f64_e64 v[84:85], v[129:130], -v[84:85]
	v_add_f64_e64 v[86:87], v[131:132], -v[86:87]
	v_fma_f64 v[76:77], v[82:83], s[0:1], v[88:89]
	v_fma_f64 v[78:79], v[80:81], s[2:3], v[90:91]
	;; [unrolled: 1-line block ×4, first 2 shown]
	v_fma_f64 v[88:89], v[96:97], 2.0, -v[72:73]
	v_fma_f64 v[90:91], v[98:99], 2.0, -v[74:75]
	s_add_nc_u64 s[0:1], s[12:13], 0x500
	v_fma_f64 v[92:93], v[129:130], 2.0, -v[84:85]
	v_fma_f64 v[94:95], v[131:132], 2.0, -v[86:87]
	;; [unrolled: 1-line block ×6, first 2 shown]
	ds_store_b128 v113, v[92:95]
	ds_store_b128 v109, v[96:99] offset:160
	ds_store_b128 v109, v[88:91] offset:320
	;; [unrolled: 1-line block ×7, first 2 shown]
	global_wb scope:SCOPE_SE
	s_wait_dscnt 0x0
	s_barrier_signal -1
	s_barrier_wait -1
	global_inv scope:SCOPE_SE
	global_load_b128 v[85:88], v[105:106], off offset:1280
	v_lshlrev_b32_e32 v84, 4, v107
	s_clause 0x3
	global_load_b128 v[89:92], v84, s[0:1] offset:256
	global_load_b128 v[93:96], v84, s[0:1] offset:512
	;; [unrolled: 1-line block ×4, first 2 shown]
	ds_load_b128 v[125:128], v113
	s_wait_loadcnt_dscnt 0x400
	v_mul_f64_e32 v[101:102], v[127:128], v[87:88]
	v_mul_f64_e32 v[87:88], v[125:126], v[87:88]
	s_delay_alu instid0(VALU_DEP_2) | instskip(NEXT) | instid1(VALU_DEP_2)
	v_fma_f64 v[125:126], v[125:126], v[85:86], -v[101:102]
	v_fma_f64 v[127:128], v[127:128], v[85:86], v[87:88]
	ds_store_b128 v113, v[125:128]
	ds_load_b128 v[85:88], v109 offset:256
	ds_load_b128 v[125:128], v109 offset:512
	;; [unrolled: 1-line block ×4, first 2 shown]
	s_wait_loadcnt_dscnt 0x303
	v_mul_f64_e32 v[101:102], v[87:88], v[91:92]
	v_mul_f64_e32 v[91:92], v[85:86], v[91:92]
	s_wait_loadcnt_dscnt 0x202
	v_mul_f64_e32 v[137:138], v[127:128], v[95:96]
	v_mul_f64_e32 v[95:96], v[125:126], v[95:96]
	;; [unrolled: 3-line block ×4, first 2 shown]
	v_fma_f64 v[85:86], v[85:86], v[89:90], -v[101:102]
	v_fma_f64 v[87:88], v[87:88], v[89:90], v[91:92]
	v_fma_f64 v[89:90], v[125:126], v[93:94], -v[137:138]
	v_fma_f64 v[91:92], v[127:128], v[93:94], v[95:96]
	;; [unrolled: 2-line block ×4, first 2 shown]
	ds_store_b128 v109, v[85:88] offset:256
	ds_store_b128 v109, v[89:92] offset:512
	;; [unrolled: 1-line block ×4, first 2 shown]
	s_and_saveexec_b32 s2, vcc_lo
	s_cbranch_execz .LBB0_9
; %bb.8:
	s_wait_alu 0xfffe
	v_add_co_u32 v100, s0, s0, v84
	s_wait_alu 0xf1ff
	v_add_co_ci_u32_e64 v101, null, s1, 0, s0
	s_clause 0x4
	global_load_b128 v[84:87], v[100:101], off offset:160
	global_load_b128 v[88:91], v[100:101], off offset:416
	;; [unrolled: 1-line block ×5, first 2 shown]
	ds_load_b128 v[121:124], v109 offset:160
	ds_load_b128 v[125:128], v109 offset:416
	;; [unrolled: 1-line block ×5, first 2 shown]
	s_wait_loadcnt_dscnt 0x404
	v_mul_f64_e32 v[141:142], v[123:124], v[86:87]
	v_mul_f64_e32 v[86:87], v[121:122], v[86:87]
	s_wait_loadcnt_dscnt 0x303
	v_mul_f64_e32 v[143:144], v[127:128], v[90:91]
	v_mul_f64_e32 v[90:91], v[125:126], v[90:91]
	;; [unrolled: 3-line block ×5, first 2 shown]
	v_fma_f64 v[121:122], v[121:122], v[84:85], -v[141:142]
	v_fma_f64 v[123:124], v[123:124], v[84:85], v[86:87]
	v_fma_f64 v[84:85], v[125:126], v[88:89], -v[143:144]
	v_fma_f64 v[86:87], v[127:128], v[88:89], v[90:91]
	;; [unrolled: 2-line block ×5, first 2 shown]
	ds_store_b128 v109, v[121:124] offset:160
	ds_store_b128 v109, v[84:87] offset:416
	;; [unrolled: 1-line block ×5, first 2 shown]
.LBB0_9:
	s_wait_alu 0xfffe
	s_or_b32 exec_lo, exec_lo, s2
	global_wb scope:SCOPE_SE
	s_wait_dscnt 0x0
	s_barrier_signal -1
	s_barrier_wait -1
	global_inv scope:SCOPE_SE
	ds_load_b128 v[100:103], v113
	ds_load_b128 v[96:99], v109 offset:256
	ds_load_b128 v[92:95], v109 offset:512
	ds_load_b128 v[88:91], v109 offset:768
	ds_load_b128 v[84:87], v109 offset:1024
	s_and_saveexec_b32 s0, vcc_lo
	s_cbranch_execz .LBB0_11
; %bb.10:
	v_lshlrev_b32_e32 v20, 4, v114
	s_delay_alu instid0(VALU_DEP_1)
	v_lshl_add_u32 v20, v107, 4, v20
	ds_load_b128 v[76:79], v109 offset:160
	ds_load_b128 v[72:75], v20 offset:416
	;; [unrolled: 1-line block ×5, first 2 shown]
.LBB0_11:
	s_wait_alu 0xfffe
	s_or_b32 exec_lo, exec_lo, s0
	s_wait_dscnt 0x1
	v_add_f64_e32 v[121:122], v[92:93], v[88:89]
	v_add_f64_e32 v[125:126], v[94:95], v[90:91]
	s_wait_dscnt 0x0
	v_add_f64_e32 v[123:124], v[96:97], v[84:85]
	v_add_f64_e32 v[127:128], v[98:99], v[86:87]
	v_add_f64_e32 v[129:130], v[100:101], v[96:97]
	v_add_f64_e32 v[135:136], v[102:103], v[98:99]
	v_add_f64_e64 v[131:132], v[98:99], -v[86:87]
	v_add_f64_e64 v[137:138], v[96:97], -v[84:85]
	;; [unrolled: 1-line block ×3, first 2 shown]
	s_mov_b32 s0, 0x134454ff
	s_mov_b32 s1, 0xbfee6f0e
	;; [unrolled: 1-line block ×3, first 2 shown]
	s_wait_alu 0xfffe
	s_mov_b32 s2, s0
	v_add_f64_e64 v[143:144], v[98:99], -v[94:95]
	v_add_f64_e64 v[98:99], v[94:95], -v[98:99]
	;; [unrolled: 1-line block ×6, first 2 shown]
	s_mov_b32 s12, 0x4755a5e
	s_mov_b32 s13, 0xbfe2cf23
	;; [unrolled: 1-line block ×3, first 2 shown]
	s_wait_alu 0xfffe
	s_mov_b32 s8, s12
	global_wb scope:SCOPE_SE
	s_barrier_signal -1
	s_barrier_wait -1
	global_inv scope:SCOPE_SE
	v_fma_f64 v[121:122], v[121:122], -0.5, v[100:101]
	v_fma_f64 v[125:126], v[125:126], -0.5, v[102:103]
	;; [unrolled: 1-line block ×3, first 2 shown]
	v_add_f64_e64 v[123:124], v[92:93], -v[88:89]
	v_fma_f64 v[102:103], v[127:128], -0.5, v[102:103]
	v_add_f64_e64 v[127:128], v[96:97], -v[92:93]
	v_add_f64_e64 v[96:97], v[92:93], -v[96:97]
	v_add_f64_e32 v[92:93], v[129:130], v[92:93]
	v_add_f64_e32 v[94:95], v[135:136], v[94:95]
	v_fma_f64 v[129:130], v[131:132], s[0:1], v[121:122]
	v_fma_f64 v[121:122], v[131:132], s[2:3], v[121:122]
	;; [unrolled: 1-line block ×8, first 2 shown]
	v_add_f64_e32 v[88:89], v[92:93], v[88:89]
	v_add_f64_e32 v[90:91], v[94:95], v[90:91]
	v_add_f64_e32 v[127:128], v[127:128], v[139:140]
	v_add_f64_e32 v[139:140], v[96:97], v[141:142]
	v_add_f64_e32 v[141:142], v[143:144], v[145:146]
	v_add_f64_e32 v[143:144], v[98:99], v[147:148]
	v_fma_f64 v[92:93], v[133:134], s[12:13], v[129:130]
	s_wait_alu 0xfffe
	v_fma_f64 v[94:95], v[133:134], s[8:9], v[121:122]
	v_fma_f64 v[121:122], v[123:124], s[8:9], v[149:150]
	;; [unrolled: 1-line block ×7, first 2 shown]
	v_add_f64_e32 v[84:85], v[88:89], v[84:85]
	v_add_f64_e32 v[86:87], v[90:91], v[86:87]
	v_fma_f64 v[88:89], v[127:128], s[14:15], v[92:93]
	v_fma_f64 v[92:93], v[127:128], s[14:15], v[94:95]
	v_fma_f64 v[90:91], v[141:142], s[14:15], v[121:122]
	v_fma_f64 v[96:97], v[139:140], s[14:15], v[96:97]
	v_fma_f64 v[100:101], v[139:140], s[14:15], v[98:99]
	v_fma_f64 v[98:99], v[143:144], s[14:15], v[129:130]
	v_fma_f64 v[102:103], v[143:144], s[14:15], v[102:103]
	v_fma_f64 v[94:95], v[141:142], s[14:15], v[123:124]
	ds_store_b128 v116, v[84:87]
	ds_store_b128 v116, v[88:91] offset:16
	ds_store_b128 v116, v[96:99] offset:32
	;; [unrolled: 1-line block ×4, first 2 shown]
	s_and_saveexec_b32 s16, vcc_lo
	s_cbranch_execz .LBB0_13
; %bb.12:
	v_add_f64_e32 v[84:85], v[22:23], v[74:75]
	v_add_f64_e32 v[86:87], v[82:83], v[26:27]
	;; [unrolled: 1-line block ×6, first 2 shown]
	v_add_f64_e64 v[92:93], v[80:81], -v[24:25]
	v_add_f64_e64 v[94:95], v[72:73], -v[20:21]
	;; [unrolled: 1-line block ×9, first 2 shown]
	v_fma_f64 v[84:85], v[84:85], -0.5, v[78:79]
	v_fma_f64 v[78:79], v[86:87], -0.5, v[78:79]
	;; [unrolled: 1-line block ×3, first 2 shown]
	v_add_f64_e64 v[86:87], v[82:83], -v[26:27]
	v_fma_f64 v[76:77], v[90:91], -0.5, v[76:77]
	v_add_f64_e64 v[90:91], v[82:83], -v[74:75]
	v_add_f64_e64 v[74:75], v[74:75], -v[82:83]
	v_add_f64_e32 v[82:83], v[82:83], v[96:97]
	v_add_f64_e32 v[80:81], v[80:81], v[98:99]
	v_fma_f64 v[96:97], v[92:93], s[2:3], v[84:85]
	v_fma_f64 v[84:85], v[92:93], s[0:1], v[84:85]
	v_fma_f64 v[98:99], v[94:95], s[0:1], v[78:79]
	v_fma_f64 v[78:79], v[94:95], s[2:3], v[78:79]
	v_fma_f64 v[129:130], v[100:101], s[0:1], v[88:89]
	v_fma_f64 v[131:132], v[86:87], s[2:3], v[76:77]
	v_fma_f64 v[76:77], v[86:87], s[0:1], v[76:77]
	v_fma_f64 v[88:89], v[100:101], s[2:3], v[88:89]
	v_add_f64_e32 v[26:27], v[26:27], v[82:83]
	v_add_f64_e32 v[24:25], v[24:25], v[80:81]
	;; [unrolled: 1-line block ×6, first 2 shown]
	v_fma_f64 v[72:73], v[94:95], s[12:13], v[96:97]
	v_fma_f64 v[74:75], v[94:95], s[8:9], v[84:85]
	;; [unrolled: 1-line block ×8, first 2 shown]
	v_add_f64_e32 v[22:23], v[22:23], v[26:27]
	v_add_f64_e32 v[20:21], v[20:21], v[24:25]
	v_fma_f64 v[26:27], v[90:91], s[14:15], v[72:73]
	v_fma_f64 v[74:75], v[90:91], s[14:15], v[74:75]
	;; [unrolled: 1-line block ×8, first 2 shown]
	v_add_lshl_u32 v84, v114, v115, 4
	ds_store_b128 v84, v[20:23]
	ds_store_b128 v84, v[80:83] offset:16
	ds_store_b128 v84, v[72:75] offset:32
	;; [unrolled: 1-line block ×4, first 2 shown]
.LBB0_13:
	s_or_b32 exec_lo, exec_lo, s16
	global_wb scope:SCOPE_SE
	s_wait_dscnt 0x0
	s_barrier_signal -1
	s_barrier_wait -1
	global_inv scope:SCOPE_SE
	ds_load_b128 v[20:23], v109 offset:640
	ds_load_b128 v[24:27], v109 offset:800
	;; [unrolled: 1-line block ×4, first 2 shown]
	s_mov_b32 s0, 0x667f3bcd
	s_mov_b32 s1, 0xbfe6a09e
	;; [unrolled: 1-line block ×3, first 2 shown]
	s_wait_alu 0xfffe
	s_mov_b32 s2, s0
	s_wait_dscnt 0x3
	v_mul_f64_e32 v[80:81], v[38:39], v[22:23]
	v_mul_f64_e32 v[38:39], v[38:39], v[20:21]
	s_wait_dscnt 0x2
	v_mul_f64_e32 v[82:83], v[42:43], v[26:27]
	v_mul_f64_e32 v[42:43], v[42:43], v[24:25]
	;; [unrolled: 3-line block ×4, first 2 shown]
	v_fma_f64 v[80:81], v[36:37], v[20:21], v[80:81]
	v_fma_f64 v[38:39], v[36:37], v[22:23], -v[38:39]
	v_fma_f64 v[82:83], v[40:41], v[24:25], v[82:83]
	v_fma_f64 v[42:43], v[40:41], v[26:27], -v[42:43]
	;; [unrolled: 2-line block ×4, first 2 shown]
	ds_load_b128 v[20:23], v113
	ds_load_b128 v[24:27], v109 offset:160
	ds_load_b128 v[28:31], v109 offset:320
	;; [unrolled: 1-line block ×3, first 2 shown]
	global_wb scope:SCOPE_SE
	s_wait_dscnt 0x0
	s_barrier_signal -1
	s_barrier_wait -1
	global_inv scope:SCOPE_SE
	v_add_f64_e64 v[36:37], v[20:21], -v[80:81]
	v_add_f64_e64 v[38:39], v[22:23], -v[38:39]
	;; [unrolled: 1-line block ×8, first 2 shown]
	v_fma_f64 v[20:21], v[20:21], 2.0, -v[36:37]
	v_fma_f64 v[22:23], v[22:23], 2.0, -v[38:39]
	;; [unrolled: 1-line block ×8, first 2 shown]
	ds_store_b128 v120, v[20:23]
	ds_store_b128 v120, v[36:39] offset:80
	ds_store_b128 v119, v[24:27]
	ds_store_b128 v119, v[40:43] offset:80
	;; [unrolled: 2-line block ×4, first 2 shown]
	global_wb scope:SCOPE_SE
	s_wait_dscnt 0x0
	s_barrier_signal -1
	s_barrier_wait -1
	global_inv scope:SCOPE_SE
	ds_load_b128 v[20:23], v109 offset:160
	ds_load_b128 v[24:27], v109 offset:320
	;; [unrolled: 1-line block ×7, first 2 shown]
	s_wait_dscnt 0x6
	v_mul_f64_e32 v[76:77], v[54:55], v[22:23]
	v_mul_f64_e32 v[54:55], v[54:55], v[20:21]
	s_wait_dscnt 0x5
	v_mul_f64_e32 v[78:79], v[50:51], v[26:27]
	v_mul_f64_e32 v[50:51], v[50:51], v[24:25]
	;; [unrolled: 3-line block ×7, first 2 shown]
	v_fma_f64 v[76:77], v[52:53], v[20:21], v[76:77]
	v_fma_f64 v[52:53], v[52:53], v[22:23], -v[54:55]
	v_fma_f64 v[24:25], v[48:49], v[24:25], v[78:79]
	v_fma_f64 v[26:27], v[48:49], v[26:27], -v[50:51]
	;; [unrolled: 2-line block ×7, first 2 shown]
	ds_load_b128 v[20:23], v113
	s_wait_dscnt 0x0
	v_add_f64_e64 v[28:29], v[20:21], -v[28:29]
	v_add_f64_e64 v[30:31], v[22:23], -v[30:31]
	;; [unrolled: 1-line block ×8, first 2 shown]
	v_fma_f64 v[20:21], v[20:21], 2.0, -v[28:29]
	v_fma_f64 v[22:23], v[22:23], 2.0, -v[30:31]
	;; [unrolled: 1-line block ×6, first 2 shown]
	v_add_f64_e32 v[52:53], v[28:29], v[34:35]
	v_add_f64_e64 v[54:55], v[30:31], -v[32:33]
	v_fma_f64 v[32:33], v[40:41], 2.0, -v[44:45]
	v_fma_f64 v[34:35], v[42:43], 2.0, -v[46:47]
	v_add_f64_e32 v[40:41], v[36:37], v[46:47]
	v_add_f64_e64 v[42:43], v[38:39], -v[44:45]
	v_add_f64_e64 v[44:45], v[20:21], -v[24:25]
	;; [unrolled: 1-line block ×3, first 2 shown]
	v_fma_f64 v[56:57], v[28:29], 2.0, -v[52:53]
	v_fma_f64 v[58:59], v[30:31], 2.0, -v[54:55]
	v_add_f64_e64 v[24:25], v[48:49], -v[32:33]
	v_add_f64_e64 v[26:27], v[50:51], -v[34:35]
	v_fma_f64 v[30:31], v[36:37], 2.0, -v[40:41]
	v_fma_f64 v[28:29], v[38:39], 2.0, -v[42:43]
	v_fma_f64 v[60:61], v[20:21], 2.0, -v[44:45]
	v_fma_f64 v[62:63], v[22:23], 2.0, -v[46:47]
	v_fma_f64 v[32:33], v[48:49], 2.0, -v[24:25]
	v_fma_f64 v[34:35], v[50:51], 2.0, -v[26:27]
	v_fma_f64 v[36:37], v[30:31], s[0:1], v[56:57]
	v_fma_f64 v[38:39], v[28:29], s[0:1], v[58:59]
	s_wait_alu 0xfffe
	v_fma_f64 v[48:49], v[40:41], s[2:3], v[52:53]
	v_fma_f64 v[50:51], v[42:43], s[2:3], v[54:55]
	v_add_f64_e32 v[20:21], v[44:45], v[26:27]
	v_add_f64_e64 v[22:23], v[46:47], -v[24:25]
	v_add_f64_e64 v[24:25], v[60:61], -v[32:33]
	;; [unrolled: 1-line block ×3, first 2 shown]
	v_fma_f64 v[28:29], v[28:29], s[2:3], v[36:37]
	v_fma_f64 v[30:31], v[30:31], s[0:1], v[38:39]
	;; [unrolled: 1-line block ×4, first 2 shown]
	v_fma_f64 v[36:37], v[44:45], 2.0, -v[20:21]
	v_fma_f64 v[38:39], v[46:47], 2.0, -v[22:23]
	s_mov_b32 s2, 0x9999999a
	s_mov_b32 s3, 0x3f899999
	v_fma_f64 v[40:41], v[60:61], 2.0, -v[24:25]
	v_fma_f64 v[42:43], v[62:63], 2.0, -v[26:27]
	;; [unrolled: 1-line block ×6, first 2 shown]
	v_mad_co_u64_u32 v[52:53], null, s4, v107, 0
	v_mad_co_u64_u32 v[54:55], null, s4, v108, 0
	;; [unrolled: 1-line block ×3, first 2 shown]
	ds_store_b128 v113, v[40:43]
	ds_store_b128 v109, v[44:47] offset:160
	ds_store_b128 v109, v[36:39] offset:320
	;; [unrolled: 1-line block ×7, first 2 shown]
	global_wb scope:SCOPE_SE
	s_wait_dscnt 0x0
	s_barrier_signal -1
	s_barrier_wait -1
	global_inv scope:SCOPE_SE
	ds_load_b128 v[20:23], v113
	ds_load_b128 v[24:27], v109 offset:256
	ds_load_b128 v[28:31], v109 offset:512
	;; [unrolled: 1-line block ×4, first 2 shown]
	v_mad_co_u64_u32 v[50:51], null, s6, v104, 0
	s_wait_dscnt 0x4
	v_mul_f64_e32 v[40:41], v[6:7], v[22:23]
	v_mul_f64_e32 v[6:7], v[6:7], v[20:21]
	s_wait_dscnt 0x3
	v_mul_f64_e32 v[42:43], v[2:3], v[26:27]
	v_mul_f64_e32 v[2:3], v[2:3], v[24:25]
	;; [unrolled: 3-line block ×5, first 2 shown]
	v_fma_f64 v[20:21], v[4:5], v[20:21], v[40:41]
	v_fma_f64 v[4:5], v[4:5], v[22:23], -v[6:7]
	v_fma_f64 v[6:7], v[0:1], v[24:25], v[42:43]
	v_fma_f64 v[0:1], v[0:1], v[26:27], -v[2:3]
	;; [unrolled: 2-line block ×5, first 2 shown]
	v_mad_co_u64_u32 v[30:31], null, s4, v111, 0
	v_dual_mov_b32 v2, v51 :: v_dual_mov_b32 v3, v53
	v_mad_co_u64_u32 v[32:33], null, s4, v112, 0
	v_dual_mov_b32 v8, v55 :: v_dual_mov_b32 v9, v57
	s_delay_alu instid0(VALU_DEP_3) | instskip(NEXT) | instid1(VALU_DEP_3)
	v_mad_co_u64_u32 v[16:17], null, s7, v104, v[2:3]
	v_dual_mov_b32 v10, v31 :: v_dual_mov_b32 v11, v33
	s_delay_alu instid0(VALU_DEP_3) | instskip(NEXT) | instid1(VALU_DEP_2)
	v_mad_co_u64_u32 v[17:18], null, s5, v108, v[8:9]
	v_mad_co_u64_u32 v[33:34], null, s5, v110, v[9:10]
	s_delay_alu instid0(VALU_DEP_3) | instskip(SKIP_1) | instid1(VALU_DEP_4)
	v_mad_co_u64_u32 v[34:35], null, s5, v111, v[10:11]
	v_mov_b32_e32 v51, v16
	v_mov_b32_e32 v55, v17
	s_delay_alu instid0(VALU_DEP_4) | instskip(NEXT) | instid1(VALU_DEP_4)
	v_mov_b32_e32 v57, v33
	v_mov_b32_e32 v31, v34
	v_mad_co_u64_u32 v[2:3], null, s5, v107, v[3:4]
	s_wait_alu 0xfffe
	v_mul_f64_e32 v[4:5], s[2:3], v[4:5]
	v_mul_f64_e32 v[6:7], s[2:3], v[6:7]
	;; [unrolled: 1-line block ×3, first 2 shown]
	v_mad_co_u64_u32 v[35:36], null, s5, v112, v[11:12]
	v_mul_f64_e32 v[10:11], s[2:3], v[22:23]
	v_mov_b32_e32 v53, v2
	v_mul_f64_e32 v[2:3], s[2:3], v[20:21]
	v_mul_f64_e32 v[12:13], s[2:3], v[12:13]
	;; [unrolled: 1-line block ×6, first 2 shown]
	v_lshlrev_b64_e32 v[0:1], 4, v[50:51]
	v_lshlrev_b64_e32 v[22:23], 4, v[52:53]
	v_mov_b32_e32 v33, v35
	v_lshlrev_b64_e32 v[24:25], 4, v[54:55]
	v_lshlrev_b64_e32 v[26:27], 4, v[56:57]
	;; [unrolled: 1-line block ×3, first 2 shown]
	v_add_co_u32 v34, s0, s10, v0
	s_wait_alu 0xf1ff
	v_add_co_ci_u32_e64 v35, s0, s11, v1, s0
	v_lshlrev_b64_e32 v[30:31], 4, v[32:33]
	s_delay_alu instid0(VALU_DEP_3) | instskip(SKIP_1) | instid1(VALU_DEP_3)
	v_add_co_u32 v0, s0, v34, v22
	s_wait_alu 0xf1ff
	v_add_co_ci_u32_e64 v1, s0, v35, v23, s0
	v_add_co_u32 v22, s0, v34, v24
	s_wait_alu 0xf1ff
	v_add_co_ci_u32_e64 v23, s0, v35, v25, s0
	;; [unrolled: 3-line block ×5, first 2 shown]
	s_clause 0x4
	global_store_b128 v[0:1], v[2:5], off
	global_store_b128 v[22:23], v[6:9], off
	;; [unrolled: 1-line block ×5, first 2 shown]
	s_and_b32 exec_lo, exec_lo, vcc_lo
	s_cbranch_execz .LBB0_15
; %bb.14:
	s_clause 0x4
	global_load_b128 v[2:5], v[105:106], off offset:160
	global_load_b128 v[6:9], v[105:106], off offset:416
	;; [unrolled: 1-line block ×5, first 2 shown]
	ds_load_b128 v[22:25], v109 offset:160
	ds_load_b128 v[26:29], v109 offset:416
	;; [unrolled: 1-line block ×5, first 2 shown]
	s_lshl_b64 s[0:1], s[4:5], 8
	s_wait_loadcnt_dscnt 0x404
	v_mul_f64_e32 v[42:43], v[24:25], v[4:5]
	v_mul_f64_e32 v[4:5], v[22:23], v[4:5]
	s_wait_loadcnt_dscnt 0x303
	v_mul_f64_e32 v[44:45], v[28:29], v[8:9]
	v_mul_f64_e32 v[8:9], v[26:27], v[8:9]
	;; [unrolled: 3-line block ×5, first 2 shown]
	v_fma_f64 v[22:23], v[22:23], v[2:3], v[42:43]
	v_fma_f64 v[2:3], v[2:3], v[24:25], -v[4:5]
	v_fma_f64 v[4:5], v[26:27], v[6:7], v[44:45]
	v_fma_f64 v[6:7], v[6:7], v[28:29], -v[8:9]
	;; [unrolled: 2-line block ×5, first 2 shown]
	v_mad_co_u64_u32 v[20:21], null, 0xa0, s4, v[0:1]
	v_mul_f64_e32 v[0:1], s[2:3], v[22:23]
	v_mul_f64_e32 v[2:3], s[2:3], v[2:3]
	;; [unrolled: 1-line block ×10, first 2 shown]
	v_mad_co_u64_u32 v[21:22], null, 0xa0, s5, v[21:22]
	s_wait_alu 0xfffe
	v_add_co_u32 v22, vcc_lo, v20, s0
	s_wait_alu 0xfffd
	s_delay_alu instid0(VALU_DEP_2) | instskip(NEXT) | instid1(VALU_DEP_2)
	v_add_co_ci_u32_e32 v23, vcc_lo, s1, v21, vcc_lo
	v_add_co_u32 v24, vcc_lo, v22, s0
	s_wait_alu 0xfffd
	s_delay_alu instid0(VALU_DEP_2) | instskip(NEXT) | instid1(VALU_DEP_2)
	v_add_co_ci_u32_e32 v25, vcc_lo, s1, v23, vcc_lo
	;; [unrolled: 4-line block ×3, first 2 shown]
	v_add_co_u32 v28, vcc_lo, v26, s0
	s_wait_alu 0xfffd
	s_delay_alu instid0(VALU_DEP_2)
	v_add_co_ci_u32_e32 v29, vcc_lo, s1, v27, vcc_lo
	s_clause 0x3
	global_store_b128 v[20:21], v[0:3], off
	global_store_b128 v[22:23], v[4:7], off
	global_store_b128 v[24:25], v[8:11], off
	global_store_b128 v[26:27], v[12:15], off
	global_store_b128 v[28:29], v[16:19], off
.LBB0_15:
	s_nop 0
	s_sendmsg sendmsg(MSG_DEALLOC_VGPRS)
	s_endpgm
	.section	.rodata,"a",@progbits
	.p2align	6, 0x0
	.amdhsa_kernel bluestein_single_fwd_len80_dim1_dp_op_CI_CI
		.amdhsa_group_segment_fixed_size 7680
		.amdhsa_private_segment_fixed_size 0
		.amdhsa_kernarg_size 104
		.amdhsa_user_sgpr_count 2
		.amdhsa_user_sgpr_dispatch_ptr 0
		.amdhsa_user_sgpr_queue_ptr 0
		.amdhsa_user_sgpr_kernarg_segment_ptr 1
		.amdhsa_user_sgpr_dispatch_id 0
		.amdhsa_user_sgpr_private_segment_size 0
		.amdhsa_wavefront_size32 1
		.amdhsa_uses_dynamic_stack 0
		.amdhsa_enable_private_segment 0
		.amdhsa_system_sgpr_workgroup_id_x 1
		.amdhsa_system_sgpr_workgroup_id_y 0
		.amdhsa_system_sgpr_workgroup_id_z 0
		.amdhsa_system_sgpr_workgroup_info 0
		.amdhsa_system_vgpr_workitem_id 0
		.amdhsa_next_free_vgpr 153
		.amdhsa_next_free_sgpr 17
		.amdhsa_reserve_vcc 1
		.amdhsa_float_round_mode_32 0
		.amdhsa_float_round_mode_16_64 0
		.amdhsa_float_denorm_mode_32 3
		.amdhsa_float_denorm_mode_16_64 3
		.amdhsa_fp16_overflow 0
		.amdhsa_workgroup_processor_mode 1
		.amdhsa_memory_ordered 1
		.amdhsa_forward_progress 0
		.amdhsa_round_robin_scheduling 0
		.amdhsa_exception_fp_ieee_invalid_op 0
		.amdhsa_exception_fp_denorm_src 0
		.amdhsa_exception_fp_ieee_div_zero 0
		.amdhsa_exception_fp_ieee_overflow 0
		.amdhsa_exception_fp_ieee_underflow 0
		.amdhsa_exception_fp_ieee_inexact 0
		.amdhsa_exception_int_div_zero 0
	.end_amdhsa_kernel
	.text
.Lfunc_end0:
	.size	bluestein_single_fwd_len80_dim1_dp_op_CI_CI, .Lfunc_end0-bluestein_single_fwd_len80_dim1_dp_op_CI_CI
                                        ; -- End function
	.section	.AMDGPU.csdata,"",@progbits
; Kernel info:
; codeLenInByte = 8436
; NumSgprs: 19
; NumVgprs: 153
; ScratchSize: 0
; MemoryBound: 0
; FloatMode: 240
; IeeeMode: 1
; LDSByteSize: 7680 bytes/workgroup (compile time only)
; SGPRBlocks: 2
; VGPRBlocks: 19
; NumSGPRsForWavesPerEU: 19
; NumVGPRsForWavesPerEU: 153
; Occupancy: 9
; WaveLimiterHint : 1
; COMPUTE_PGM_RSRC2:SCRATCH_EN: 0
; COMPUTE_PGM_RSRC2:USER_SGPR: 2
; COMPUTE_PGM_RSRC2:TRAP_HANDLER: 0
; COMPUTE_PGM_RSRC2:TGID_X_EN: 1
; COMPUTE_PGM_RSRC2:TGID_Y_EN: 0
; COMPUTE_PGM_RSRC2:TGID_Z_EN: 0
; COMPUTE_PGM_RSRC2:TIDIG_COMP_CNT: 0
	.text
	.p2alignl 7, 3214868480
	.fill 96, 4, 3214868480
	.type	__hip_cuid_becb602d75c39ef9,@object ; @__hip_cuid_becb602d75c39ef9
	.section	.bss,"aw",@nobits
	.globl	__hip_cuid_becb602d75c39ef9
__hip_cuid_becb602d75c39ef9:
	.byte	0                               ; 0x0
	.size	__hip_cuid_becb602d75c39ef9, 1

	.ident	"AMD clang version 19.0.0git (https://github.com/RadeonOpenCompute/llvm-project roc-6.4.0 25133 c7fe45cf4b819c5991fe208aaa96edf142730f1d)"
	.section	".note.GNU-stack","",@progbits
	.addrsig
	.addrsig_sym __hip_cuid_becb602d75c39ef9
	.amdgpu_metadata
---
amdhsa.kernels:
  - .args:
      - .actual_access:  read_only
        .address_space:  global
        .offset:         0
        .size:           8
        .value_kind:     global_buffer
      - .actual_access:  read_only
        .address_space:  global
        .offset:         8
        .size:           8
        .value_kind:     global_buffer
      - .actual_access:  read_only
        .address_space:  global
        .offset:         16
        .size:           8
        .value_kind:     global_buffer
      - .actual_access:  read_only
        .address_space:  global
        .offset:         24
        .size:           8
        .value_kind:     global_buffer
      - .actual_access:  read_only
        .address_space:  global
        .offset:         32
        .size:           8
        .value_kind:     global_buffer
      - .offset:         40
        .size:           8
        .value_kind:     by_value
      - .address_space:  global
        .offset:         48
        .size:           8
        .value_kind:     global_buffer
      - .address_space:  global
        .offset:         56
        .size:           8
        .value_kind:     global_buffer
      - .address_space:  global
        .offset:         64
        .size:           8
        .value_kind:     global_buffer
      - .address_space:  global
        .offset:         72
        .size:           8
        .value_kind:     global_buffer
      - .offset:         80
        .size:           4
        .value_kind:     by_value
      - .address_space:  global
        .offset:         88
        .size:           8
        .value_kind:     global_buffer
      - .address_space:  global
        .offset:         96
        .size:           8
        .value_kind:     global_buffer
    .group_segment_fixed_size: 7680
    .kernarg_segment_align: 8
    .kernarg_segment_size: 104
    .language:       OpenCL C
    .language_version:
      - 2
      - 0
    .max_flat_workgroup_size: 60
    .name:           bluestein_single_fwd_len80_dim1_dp_op_CI_CI
    .private_segment_fixed_size: 0
    .sgpr_count:     19
    .sgpr_spill_count: 0
    .symbol:         bluestein_single_fwd_len80_dim1_dp_op_CI_CI.kd
    .uniform_work_group_size: 1
    .uses_dynamic_stack: false
    .vgpr_count:     153
    .vgpr_spill_count: 0
    .wavefront_size: 32
    .workgroup_processor_mode: 1
amdhsa.target:   amdgcn-amd-amdhsa--gfx1201
amdhsa.version:
  - 1
  - 2
...

	.end_amdgpu_metadata
